;; amdgpu-corpus repo=ROCm/rocFFT kind=compiled arch=gfx1030 opt=O3
	.text
	.amdgcn_target "amdgcn-amd-amdhsa--gfx1030"
	.amdhsa_code_object_version 6
	.protected	fft_rtc_fwd_len880_factors_2_2_2_2_11_5_wgs_176_tpt_88_halfLds_half_ip_CI_unitstride_sbrr_C2R_dirReg ; -- Begin function fft_rtc_fwd_len880_factors_2_2_2_2_11_5_wgs_176_tpt_88_halfLds_half_ip_CI_unitstride_sbrr_C2R_dirReg
	.globl	fft_rtc_fwd_len880_factors_2_2_2_2_11_5_wgs_176_tpt_88_halfLds_half_ip_CI_unitstride_sbrr_C2R_dirReg
	.p2align	8
	.type	fft_rtc_fwd_len880_factors_2_2_2_2_11_5_wgs_176_tpt_88_halfLds_half_ip_CI_unitstride_sbrr_C2R_dirReg,@function
fft_rtc_fwd_len880_factors_2_2_2_2_11_5_wgs_176_tpt_88_halfLds_half_ip_CI_unitstride_sbrr_C2R_dirReg: ; @fft_rtc_fwd_len880_factors_2_2_2_2_11_5_wgs_176_tpt_88_halfLds_half_ip_CI_unitstride_sbrr_C2R_dirReg
; %bb.0:
	s_clause 0x2
	s_load_dwordx4 s[8:11], s[4:5], 0x0
	s_load_dwordx2 s[2:3], s[4:5], 0x50
	s_load_dwordx2 s[12:13], s[4:5], 0x18
	v_mul_u32_u24_e32 v1, 0x2e9, v0
	v_mov_b32_e32 v3, 0
	v_lshrrev_b32_e32 v9, 16, v1
	v_mov_b32_e32 v1, 0
	v_mov_b32_e32 v6, v3
	v_mov_b32_e32 v2, 0
	v_lshl_add_u32 v5, s6, 1, v9
	s_waitcnt lgkmcnt(0)
	v_cmp_lt_u64_e64 s0, s[10:11], 2
	s_and_b32 vcc_lo, exec_lo, s0
	s_cbranch_vccnz .LBB0_8
; %bb.1:
	s_load_dwordx2 s[0:1], s[4:5], 0x10
	v_mov_b32_e32 v1, 0
	s_add_u32 s6, s12, 8
	v_mov_b32_e32 v2, 0
	s_addc_u32 s7, s13, 0
	s_mov_b64 s[16:17], 1
	s_waitcnt lgkmcnt(0)
	s_add_u32 s14, s0, 8
	s_addc_u32 s15, s1, 0
.LBB0_2:                                ; =>This Inner Loop Header: Depth=1
	s_load_dwordx2 s[18:19], s[14:15], 0x0
                                        ; implicit-def: $vgpr7_vgpr8
	s_mov_b32 s0, exec_lo
	s_waitcnt lgkmcnt(0)
	v_or_b32_e32 v4, s19, v6
	v_cmpx_ne_u64_e32 0, v[3:4]
	s_xor_b32 s1, exec_lo, s0
	s_cbranch_execz .LBB0_4
; %bb.3:                                ;   in Loop: Header=BB0_2 Depth=1
	v_cvt_f32_u32_e32 v4, s18
	v_cvt_f32_u32_e32 v7, s19
	s_sub_u32 s0, 0, s18
	s_subb_u32 s20, 0, s19
	v_fmac_f32_e32 v4, 0x4f800000, v7
	v_rcp_f32_e32 v4, v4
	v_mul_f32_e32 v4, 0x5f7ffffc, v4
	v_mul_f32_e32 v7, 0x2f800000, v4
	v_trunc_f32_e32 v7, v7
	v_fmac_f32_e32 v4, 0xcf800000, v7
	v_cvt_u32_f32_e32 v7, v7
	v_cvt_u32_f32_e32 v4, v4
	v_mul_lo_u32 v8, s0, v7
	v_mul_hi_u32 v10, s0, v4
	v_mul_lo_u32 v11, s20, v4
	v_add_nc_u32_e32 v8, v10, v8
	v_mul_lo_u32 v10, s0, v4
	v_add_nc_u32_e32 v8, v8, v11
	v_mul_hi_u32 v11, v4, v10
	v_mul_lo_u32 v12, v4, v8
	v_mul_hi_u32 v13, v4, v8
	v_mul_hi_u32 v14, v7, v10
	v_mul_lo_u32 v10, v7, v10
	v_mul_hi_u32 v15, v7, v8
	v_mul_lo_u32 v8, v7, v8
	v_add_co_u32 v11, vcc_lo, v11, v12
	v_add_co_ci_u32_e32 v12, vcc_lo, 0, v13, vcc_lo
	v_add_co_u32 v10, vcc_lo, v11, v10
	v_add_co_ci_u32_e32 v10, vcc_lo, v12, v14, vcc_lo
	v_add_co_ci_u32_e32 v11, vcc_lo, 0, v15, vcc_lo
	v_add_co_u32 v8, vcc_lo, v10, v8
	v_add_co_ci_u32_e32 v10, vcc_lo, 0, v11, vcc_lo
	v_add_co_u32 v4, vcc_lo, v4, v8
	v_add_co_ci_u32_e32 v7, vcc_lo, v7, v10, vcc_lo
	v_mul_hi_u32 v8, s0, v4
	v_mul_lo_u32 v11, s20, v4
	v_mul_lo_u32 v10, s0, v7
	v_add_nc_u32_e32 v8, v8, v10
	v_mul_lo_u32 v10, s0, v4
	v_add_nc_u32_e32 v8, v8, v11
	v_mul_hi_u32 v11, v4, v10
	v_mul_lo_u32 v12, v4, v8
	v_mul_hi_u32 v13, v4, v8
	v_mul_hi_u32 v14, v7, v10
	v_mul_lo_u32 v10, v7, v10
	v_mul_hi_u32 v15, v7, v8
	v_mul_lo_u32 v8, v7, v8
	v_add_co_u32 v11, vcc_lo, v11, v12
	v_add_co_ci_u32_e32 v12, vcc_lo, 0, v13, vcc_lo
	v_add_co_u32 v10, vcc_lo, v11, v10
	v_add_co_ci_u32_e32 v10, vcc_lo, v12, v14, vcc_lo
	v_add_co_ci_u32_e32 v11, vcc_lo, 0, v15, vcc_lo
	v_add_co_u32 v8, vcc_lo, v10, v8
	v_add_co_ci_u32_e32 v10, vcc_lo, 0, v11, vcc_lo
	v_add_co_u32 v4, vcc_lo, v4, v8
	v_add_co_ci_u32_e32 v12, vcc_lo, v7, v10, vcc_lo
	v_mul_hi_u32 v14, v5, v4
	v_mad_u64_u32 v[10:11], null, v6, v4, 0
	v_mad_u64_u32 v[7:8], null, v5, v12, 0
	;; [unrolled: 1-line block ×3, first 2 shown]
	v_add_co_u32 v4, vcc_lo, v14, v7
	v_add_co_ci_u32_e32 v7, vcc_lo, 0, v8, vcc_lo
	v_add_co_u32 v4, vcc_lo, v4, v10
	v_add_co_ci_u32_e32 v4, vcc_lo, v7, v11, vcc_lo
	v_add_co_ci_u32_e32 v7, vcc_lo, 0, v13, vcc_lo
	v_add_co_u32 v4, vcc_lo, v4, v12
	v_add_co_ci_u32_e32 v10, vcc_lo, 0, v7, vcc_lo
	v_mul_lo_u32 v11, s19, v4
	v_mad_u64_u32 v[7:8], null, s18, v4, 0
	v_mul_lo_u32 v12, s18, v10
	v_sub_co_u32 v7, vcc_lo, v5, v7
	v_add3_u32 v8, v8, v12, v11
	v_sub_nc_u32_e32 v11, v6, v8
	v_subrev_co_ci_u32_e64 v11, s0, s19, v11, vcc_lo
	v_add_co_u32 v12, s0, v4, 2
	v_add_co_ci_u32_e64 v13, s0, 0, v10, s0
	v_sub_co_u32 v14, s0, v7, s18
	v_sub_co_ci_u32_e32 v8, vcc_lo, v6, v8, vcc_lo
	v_subrev_co_ci_u32_e64 v11, s0, 0, v11, s0
	v_cmp_le_u32_e32 vcc_lo, s18, v14
	v_cmp_eq_u32_e64 s0, s19, v8
	v_cndmask_b32_e64 v14, 0, -1, vcc_lo
	v_cmp_le_u32_e32 vcc_lo, s19, v11
	v_cndmask_b32_e64 v15, 0, -1, vcc_lo
	v_cmp_le_u32_e32 vcc_lo, s18, v7
	;; [unrolled: 2-line block ×3, first 2 shown]
	v_cndmask_b32_e64 v16, 0, -1, vcc_lo
	v_cmp_eq_u32_e32 vcc_lo, s19, v11
	v_cndmask_b32_e64 v7, v16, v7, s0
	v_cndmask_b32_e32 v11, v15, v14, vcc_lo
	v_add_co_u32 v14, vcc_lo, v4, 1
	v_add_co_ci_u32_e32 v15, vcc_lo, 0, v10, vcc_lo
	v_cmp_ne_u32_e32 vcc_lo, 0, v11
	v_cndmask_b32_e32 v8, v15, v13, vcc_lo
	v_cndmask_b32_e32 v11, v14, v12, vcc_lo
	v_cmp_ne_u32_e32 vcc_lo, 0, v7
	v_cndmask_b32_e32 v8, v10, v8, vcc_lo
	v_cndmask_b32_e32 v7, v4, v11, vcc_lo
.LBB0_4:                                ;   in Loop: Header=BB0_2 Depth=1
	s_andn2_saveexec_b32 s0, s1
	s_cbranch_execz .LBB0_6
; %bb.5:                                ;   in Loop: Header=BB0_2 Depth=1
	v_cvt_f32_u32_e32 v4, s18
	s_sub_i32 s1, 0, s18
	v_rcp_iflag_f32_e32 v4, v4
	v_mul_f32_e32 v4, 0x4f7ffffe, v4
	v_cvt_u32_f32_e32 v4, v4
	v_mul_lo_u32 v7, s1, v4
	v_mul_hi_u32 v7, v4, v7
	v_add_nc_u32_e32 v4, v4, v7
	v_mul_hi_u32 v4, v5, v4
	v_mul_lo_u32 v7, v4, s18
	v_add_nc_u32_e32 v8, 1, v4
	v_sub_nc_u32_e32 v7, v5, v7
	v_subrev_nc_u32_e32 v10, s18, v7
	v_cmp_le_u32_e32 vcc_lo, s18, v7
	v_cndmask_b32_e32 v7, v7, v10, vcc_lo
	v_cndmask_b32_e32 v4, v4, v8, vcc_lo
	v_cmp_le_u32_e32 vcc_lo, s18, v7
	v_add_nc_u32_e32 v8, 1, v4
	v_cndmask_b32_e32 v7, v4, v8, vcc_lo
	v_mov_b32_e32 v8, v3
.LBB0_6:                                ;   in Loop: Header=BB0_2 Depth=1
	s_or_b32 exec_lo, exec_lo, s0
	s_load_dwordx2 s[0:1], s[6:7], 0x0
	v_mul_lo_u32 v4, v8, s18
	v_mul_lo_u32 v12, v7, s19
	v_mad_u64_u32 v[10:11], null, v7, s18, 0
	s_add_u32 s16, s16, 1
	s_addc_u32 s17, s17, 0
	s_add_u32 s6, s6, 8
	s_addc_u32 s7, s7, 0
	;; [unrolled: 2-line block ×3, first 2 shown]
	v_add3_u32 v4, v11, v12, v4
	v_sub_co_u32 v5, vcc_lo, v5, v10
	v_sub_co_ci_u32_e32 v4, vcc_lo, v6, v4, vcc_lo
	s_waitcnt lgkmcnt(0)
	v_mul_lo_u32 v6, s1, v5
	v_mul_lo_u32 v4, s0, v4
	v_mad_u64_u32 v[1:2], null, s0, v5, v[1:2]
	v_cmp_ge_u64_e64 s0, s[16:17], s[10:11]
	s_and_b32 vcc_lo, exec_lo, s0
	v_add3_u32 v2, v6, v2, v4
	s_cbranch_vccnz .LBB0_9
; %bb.7:                                ;   in Loop: Header=BB0_2 Depth=1
	v_mov_b32_e32 v5, v7
	v_mov_b32_e32 v6, v8
	s_branch .LBB0_2
.LBB0_8:
	v_mov_b32_e32 v8, v6
	v_mov_b32_e32 v7, v5
.LBB0_9:
	s_lshl_b64 s[0:1], s[10:11], 3
	v_and_b32_e32 v6, 1, v9
	s_add_u32 s0, s12, s0
	s_addc_u32 s1, s13, s1
	v_mul_hi_u32 v3, 0x2e8ba2f, v0
	s_load_dwordx2 s[0:1], s[0:1], 0x0
	s_load_dwordx2 s[4:5], s[4:5], 0x20
	v_cmp_eq_u32_e32 vcc_lo, 1, v6
	v_cndmask_b32_e64 v17, 0, 0x371, vcc_lo
	v_mul_u32_u24_e32 v3, 0x58, v3
	v_sub_nc_u32_e32 v0, v0, v3
	v_lshlrev_b32_e32 v3, 2, v17
	s_waitcnt lgkmcnt(0)
	v_mul_lo_u32 v4, s0, v8
	v_mul_lo_u32 v5, s1, v7
	v_mad_u64_u32 v[1:2], null, s0, v7, v[1:2]
	v_cmp_gt_u64_e32 vcc_lo, s[4:5], v[7:8]
	v_add3_u32 v2, v5, v2, v4
	v_lshlrev_b64 v[4:5], 2, v[1:2]
	s_and_saveexec_b32 s1, vcc_lo
	s_cbranch_execz .LBB0_13
; %bb.10:
	v_mov_b32_e32 v1, 0
	s_mov_b32 s4, exec_lo
	v_lshlrev_b64 v[6:7], 2, v[0:1]
	v_add_co_u32 v1, s0, s2, v4
	v_add_co_ci_u32_e64 v2, s0, s3, v5, s0
	v_add_co_u32 v6, s0, v1, v6
	v_add_co_ci_u32_e64 v7, s0, v2, v7, s0
	;; [unrolled: 2-line block ×3, first 2 shown]
	s_clause 0x9
	global_load_dword v10, v[6:7], off
	global_load_dword v11, v[6:7], off offset:352
	global_load_dword v12, v[6:7], off offset:704
	;; [unrolled: 1-line block ×9, first 2 shown]
	v_lshlrev_b32_e32 v6, 2, v0
	v_add3_u32 v6, 0, v3, v6
	v_add_nc_u32_e32 v9, 0x200, v6
	v_add_nc_u32_e32 v19, 0x400, v6
	;; [unrolled: 1-line block ×4, first 2 shown]
	s_waitcnt vmcnt(8)
	ds_write2_b32 v6, v10, v11 offset1:88
	s_waitcnt vmcnt(6)
	ds_write2_b32 v9, v12, v13 offset0:48 offset1:136
	s_waitcnt vmcnt(4)
	ds_write2_b32 v19, v14, v7 offset0:96 offset1:184
	;; [unrolled: 2-line block ×4, first 2 shown]
	v_cmpx_eq_u32_e32 0x57, v0
	s_cbranch_execz .LBB0_12
; %bb.11:
	v_add_co_u32 v0, s0, 0x800, v1
	v_add_co_ci_u32_e64 v1, s0, 0, v2, s0
	global_load_dword v1, v[0:1], off offset:1472
	v_mov_b32_e32 v0, 0x57
	s_waitcnt vmcnt(0)
	ds_write_b32 v6, v1 offset:3172
.LBB0_12:
	s_or_b32 exec_lo, exec_lo, s4
.LBB0_13:
	s_or_b32 exec_lo, exec_lo, s1
	v_lshl_add_u32 v16, v17, 2, 0
	v_lshlrev_b32_e32 v2, 2, v0
	s_waitcnt lgkmcnt(0)
	s_barrier
	buffer_gl0_inv
	s_add_u32 s1, s8, 0xdb8
	v_add_nc_u32_e32 v18, v16, v2
	v_sub_nc_u32_e32 v8, v16, v2
	s_addc_u32 s4, s9, 0
	s_mov_b32 s5, exec_lo
	ds_read_u16 v11, v18
	ds_read_u16 v12, v8 offset:3520
                                        ; implicit-def: $vgpr6_vgpr7
	s_waitcnt lgkmcnt(0)
	v_add_f16_e32 v10, v12, v11
	v_sub_f16_e32 v9, v11, v12
	v_cmpx_ne_u32_e32 0, v0
	s_xor_b32 s5, exec_lo, s5
	s_cbranch_execz .LBB0_15
; %bb.14:
	v_mov_b32_e32 v1, 0
	v_add_f16_e32 v10, v12, v11
	v_sub_f16_e32 v11, v11, v12
	v_lshlrev_b64 v[6:7], 2, v[0:1]
	v_add_co_u32 v6, s0, s1, v6
	v_add_co_ci_u32_e64 v7, s0, s4, v7, s0
	global_load_dword v6, v[6:7], off
	ds_read_u16 v7, v8 offset:3522
	ds_read_u16 v9, v18 offset:2
	s_waitcnt lgkmcnt(0)
	v_add_f16_e32 v12, v7, v9
	v_sub_f16_e32 v7, v9, v7
	s_waitcnt vmcnt(0)
	v_lshrrev_b32_e32 v13, 16, v6
	v_fma_f16 v14, -v11, v13, v10
	v_fma_f16 v15, v12, v13, -v7
	v_fma_f16 v9, v12, v13, v7
	v_fma_f16 v10, v11, v13, v10
	v_fmac_f16_e32 v14, v6, v12
	v_fmac_f16_e32 v15, v11, v6
	;; [unrolled: 1-line block ×3, first 2 shown]
	v_fma_f16 v10, -v6, v12, v10
	v_mov_b32_e32 v7, v1
	v_mov_b32_e32 v6, v0
	v_pack_b32_f16 v11, v14, v15
	ds_write_b32 v8, v11 offset:3520
.LBB0_15:
	s_andn2_saveexec_b32 s0, s5
	s_cbranch_execz .LBB0_17
; %bb.16:
	ds_read_b32 v1, v16 offset:1760
	v_mov_b32_e32 v6, 0
	v_mov_b32_e32 v7, 0
	s_waitcnt lgkmcnt(0)
	v_pk_mul_f16 v1, 0xc0004000, v1
	ds_write_b32 v16, v1 offset:1760
.LBB0_17:
	s_or_b32 exec_lo, exec_lo, s0
	v_lshlrev_b64 v[6:7], 2, v[6:7]
	v_add_nc_u32_e32 v20, 0, v2
	v_add_nc_u32_e32 v21, 0xb0, v0
	;; [unrolled: 1-line block ×3, first 2 shown]
	v_and_b32_e32 v27, 1, v0
	v_add_co_u32 v6, s0, s1, v6
	v_add_co_ci_u32_e64 v7, s0, s4, v7, s0
	v_lshlrev_b32_e32 v29, 3, v21
	v_lshlrev_b32_e32 v31, 3, v22
	;; [unrolled: 1-line block ×3, first 2 shown]
	s_clause 0x3
	global_load_dword v1, v[6:7], off offset:352
	global_load_dword v11, v[6:7], off offset:704
	;; [unrolled: 1-line block ×4, first 2 shown]
	v_perm_b32 v7, v9, v10, 0x5040100
	v_add3_u32 v29, 0, v29, v3
	v_add3_u32 v31, 0, v31, v3
	v_lshlrev_b32_e32 v21, 1, v21
	v_lshlrev_b32_e32 v22, 1, v22
	ds_write_b32 v18, v7
	ds_read_b32 v7, v18 offset:352
	ds_read_b32 v9, v8 offset:3168
	v_cmp_gt_u32_e64 s0, 0x50, v0
	s_waitcnt lgkmcnt(0)
	v_add_f16_e32 v10, v7, v9
	v_add_f16_sdwa v13, v9, v7 dst_sel:DWORD dst_unused:UNUSED_PAD src0_sel:WORD_1 src1_sel:WORD_1
	v_sub_f16_e32 v14, v7, v9
	v_sub_f16_sdwa v7, v7, v9 dst_sel:DWORD dst_unused:UNUSED_PAD src0_sel:WORD_1 src1_sel:WORD_1
	s_waitcnt vmcnt(3)
	v_lshrrev_b32_e32 v15, 16, v1
	v_fma_f16 v9, v14, v15, v10
	v_fma_f16 v19, v13, v15, v7
	v_fma_f16 v10, -v14, v15, v10
	v_fma_f16 v7, v13, v15, -v7
	v_fma_f16 v9, -v1, v13, v9
	v_fmac_f16_e32 v19, v14, v1
	v_fmac_f16_e32 v10, v1, v13
	;; [unrolled: 1-line block ×3, first 2 shown]
	v_pack_b32_f16 v1, v9, v19
	s_waitcnt vmcnt(2)
	v_lshrrev_b32_e32 v9, 16, v11
	v_pack_b32_f16 v7, v10, v7
	v_add_nc_u32_e32 v19, 0x58, v0
	ds_write_b32 v18, v1 offset:352
	ds_write_b32 v8, v7 offset:3168
	ds_read_b32 v1, v18 offset:704
	ds_read_b32 v7, v8 offset:2816
	v_lshlrev_b32_e32 v28, 3, v19
	v_add3_u32 v28, 0, v28, v3
	s_waitcnt lgkmcnt(0)
	v_add_f16_e32 v10, v1, v7
	v_add_f16_sdwa v13, v7, v1 dst_sel:DWORD dst_unused:UNUSED_PAD src0_sel:WORD_1 src1_sel:WORD_1
	v_sub_f16_e32 v14, v1, v7
	v_sub_f16_sdwa v1, v1, v7 dst_sel:DWORD dst_unused:UNUSED_PAD src0_sel:WORD_1 src1_sel:WORD_1
	v_fma_f16 v7, v14, v9, v10
	v_fma_f16 v15, v13, v9, v1
	v_fma_f16 v10, -v14, v9, v10
	v_fma_f16 v1, v13, v9, -v1
	s_waitcnt vmcnt(1)
	v_lshrrev_b32_e32 v9, 16, v12
	v_fma_f16 v7, -v11, v13, v7
	v_fmac_f16_e32 v15, v14, v11
	v_fmac_f16_e32 v10, v11, v13
	;; [unrolled: 1-line block ×3, first 2 shown]
	v_pack_b32_f16 v7, v7, v15
	v_pack_b32_f16 v1, v10, v1
	ds_write_b32 v18, v7 offset:704
	ds_write_b32 v8, v1 offset:2816
	ds_read_b32 v1, v18 offset:1056
	ds_read_b32 v7, v8 offset:2464
	s_waitcnt lgkmcnt(0)
	v_add_f16_e32 v10, v1, v7
	v_add_f16_sdwa v11, v7, v1 dst_sel:DWORD dst_unused:UNUSED_PAD src0_sel:WORD_1 src1_sel:WORD_1
	v_sub_f16_e32 v13, v1, v7
	v_sub_f16_sdwa v1, v1, v7 dst_sel:DWORD dst_unused:UNUSED_PAD src0_sel:WORD_1 src1_sel:WORD_1
	v_fma_f16 v7, v13, v9, v10
	v_fma_f16 v14, v11, v9, v1
	v_fma_f16 v10, -v13, v9, v10
	v_fma_f16 v1, v11, v9, -v1
	s_waitcnt vmcnt(0)
	v_lshrrev_b32_e32 v9, 16, v6
	v_fma_f16 v7, -v12, v11, v7
	v_fmac_f16_e32 v14, v13, v12
	v_fmac_f16_e32 v10, v12, v11
	;; [unrolled: 1-line block ×3, first 2 shown]
	v_pack_b32_f16 v7, v7, v14
	v_pack_b32_f16 v1, v10, v1
	ds_write_b32 v18, v7 offset:1056
	ds_write_b32 v8, v1 offset:2464
	ds_read_b32 v1, v18 offset:1408
	ds_read_b32 v7, v8 offset:2112
	s_waitcnt lgkmcnt(0)
	v_add_f16_e32 v10, v1, v7
	v_add_f16_sdwa v11, v7, v1 dst_sel:DWORD dst_unused:UNUSED_PAD src0_sel:WORD_1 src1_sel:WORD_1
	v_sub_f16_e32 v12, v1, v7
	v_sub_f16_sdwa v1, v1, v7 dst_sel:DWORD dst_unused:UNUSED_PAD src0_sel:WORD_1 src1_sel:WORD_1
	v_fma_f16 v7, v12, v9, v10
	v_fma_f16 v13, v11, v9, v1
	v_fma_f16 v10, -v12, v9, v10
	v_fma_f16 v9, v11, v9, -v1
	v_add_nc_u32_e32 v1, v20, v3
	v_fma_f16 v7, -v6, v11, v7
	v_fmac_f16_e32 v13, v12, v6
	v_fmac_f16_e32 v10, v6, v11
	;; [unrolled: 1-line block ×3, first 2 shown]
	v_add_nc_u32_e32 v24, 0x600, v1
	v_add_nc_u32_e32 v23, 0x800, v1
	v_pack_b32_f16 v6, v7, v13
	v_add_nc_u32_e32 v13, 0x400, v1
	v_pack_b32_f16 v7, v10, v9
	ds_write_b32 v18, v6 offset:1408
	ds_write_b32 v8, v7 offset:2112
	s_waitcnt lgkmcnt(0)
	s_barrier
	buffer_gl0_inv
	s_barrier
	buffer_gl0_inv
	ds_read2_b32 v[6:7], v24 offset0:56 offset1:144
	ds_read_b32 v25, v18
	ds_read2_b32 v[8:9], v1 offset0:88 offset1:176
	ds_read2_b32 v[10:11], v23 offset0:104 offset1:192
	;; [unrolled: 1-line block ×3, first 2 shown]
	ds_read_b32 v26, v1 offset:3168
	v_add_nc_u32_e32 v12, 0x108, v0
	v_add_nc_u32_e32 v20, v20, v2
	s_waitcnt lgkmcnt(0)
	s_barrier
	buffer_gl0_inv
	v_lshlrev_b32_e32 v30, 3, v12
	v_add_nc_u32_e32 v33, v20, v3
	v_lshlrev_b32_e32 v12, 1, v12
	v_add3_u32 v30, 0, v30, v3
	v_pk_add_f16 v6, v25, v6 neg_lo:[0,1] neg_hi:[0,1]
	v_pk_add_f16 v7, v8, v7 neg_lo:[0,1] neg_hi:[0,1]
	;; [unrolled: 1-line block ×5, first 2 shown]
	v_pk_fma_f16 v25, v25, 2.0, v6 op_sel_hi:[1,0,1] neg_lo:[0,0,1] neg_hi:[0,0,1]
	v_pk_fma_f16 v8, v8, 2.0, v7 op_sel_hi:[1,0,1] neg_lo:[0,0,1] neg_hi:[0,0,1]
	;; [unrolled: 1-line block ×5, first 2 shown]
	ds_write2_b32 v33, v25, v6 offset1:1
	ds_write2_b32 v28, v8, v7 offset1:1
	;; [unrolled: 1-line block ×5, first 2 shown]
	s_waitcnt lgkmcnt(0)
	s_barrier
	buffer_gl0_inv
	global_load_dword v25, v32, s[8:9]
	ds_read_b32 v31, v18
	ds_read_b32 v32, v1 offset:3168
	ds_read2_b32 v[6:7], v23 offset0:104 offset1:192
	ds_read2_b32 v[8:9], v24 offset0:56 offset1:144
	v_lshlrev_b32_e32 v26, 1, v0
	v_lshlrev_b32_e32 v29, 1, v19
	v_and_or_b32 v14, 0x3fc, v21, v27
	v_and_or_b32 v15, 0x3fc, v12, v27
	v_and_b32_e32 v28, 3, v0
	v_and_or_b32 v10, 0xfc, v26, v27
	v_and_or_b32 v11, 0x1fc, v29, v27
	v_lshlrev_b32_e32 v14, 2, v14
	v_lshlrev_b32_e32 v15, 2, v15
	v_and_or_b32 v27, 0x3fc, v22, v27
	v_lshlrev_b32_e32 v10, 2, v10
	v_lshlrev_b32_e32 v11, 2, v11
	v_add3_u32 v35, 0, v14, v3
	v_add3_u32 v36, 0, v15, v3
	v_lshlrev_b32_e32 v27, 2, v27
	v_add3_u32 v33, 0, v10, v3
	v_add3_u32 v34, 0, v11, v3
	ds_read2_b32 v[10:11], v1 offset0:88 offset1:176
	ds_read2_b32 v[14:15], v13 offset0:8 offset1:96
	v_lshlrev_b32_e32 v30, 2, v28
	v_add3_u32 v27, 0, v27, v3
	s_waitcnt vmcnt(0) lgkmcnt(0)
	s_barrier
	buffer_gl0_inv
	v_pk_mul_f16 v41, v25, v8 op_sel:[0,1]
	v_pk_mul_f16 v40, v25, v9 op_sel:[0,1]
	;; [unrolled: 1-line block ×5, first 2 shown]
	v_pk_fma_f16 v46, v25, v8, v41 op_sel:[0,0,1] op_sel_hi:[1,1,0] neg_lo:[0,0,1] neg_hi:[0,0,1]
	v_pk_fma_f16 v8, v25, v8, v41 op_sel:[0,0,1] op_sel_hi:[1,0,0]
	v_pk_fma_f16 v45, v25, v9, v40 op_sel:[0,0,1] op_sel_hi:[1,1,0] neg_lo:[0,0,1] neg_hi:[0,0,1]
	v_pk_fma_f16 v9, v25, v9, v40 op_sel:[0,0,1] op_sel_hi:[1,0,0]
	;; [unrolled: 2-line block ×5, first 2 shown]
	v_bfi_b32 v8, 0xffff, v46, v8
	v_bfi_b32 v9, 0xffff, v45, v9
	;; [unrolled: 1-line block ×5, first 2 shown]
	v_pk_add_f16 v8, v31, v8 neg_lo:[0,1] neg_hi:[0,1]
	v_pk_add_f16 v9, v10, v9 neg_lo:[0,1] neg_hi:[0,1]
	;; [unrolled: 1-line block ×5, first 2 shown]
	v_pk_fma_f16 v31, v31, 2.0, v8 op_sel_hi:[1,0,1] neg_lo:[0,0,1] neg_hi:[0,0,1]
	v_pk_fma_f16 v10, v10, 2.0, v9 op_sel_hi:[1,0,1] neg_lo:[0,0,1] neg_hi:[0,0,1]
	;; [unrolled: 1-line block ×5, first 2 shown]
	ds_write2_b32 v33, v31, v8 offset1:2
	ds_write2_b32 v34, v10, v9 offset1:2
	;; [unrolled: 1-line block ×5, first 2 shown]
	s_waitcnt lgkmcnt(0)
	s_barrier
	buffer_gl0_inv
	global_load_dword v25, v30, s[8:9] offset:8
	ds_read_b32 v31, v18
	ds_read_b32 v32, v1 offset:3168
	ds_read2_b32 v[6:7], v23 offset0:104 offset1:192
	ds_read2_b32 v[8:9], v24 offset0:56 offset1:144
	v_and_or_b32 v10, 0xf8, v26, v28
	v_and_or_b32 v11, 0x1f8, v29, v28
	;; [unrolled: 1-line block ×5, first 2 shown]
	v_lshlrev_b32_e32 v10, 2, v10
	v_lshlrev_b32_e32 v11, 2, v11
	;; [unrolled: 1-line block ×4, first 2 shown]
	v_and_b32_e32 v27, 7, v0
	v_add3_u32 v33, 0, v10, v3
	v_add3_u32 v34, 0, v11, v3
	;; [unrolled: 1-line block ×4, first 2 shown]
	ds_read2_b32 v[10:11], v1 offset0:88 offset1:176
	ds_read2_b32 v[14:15], v13 offset0:8 offset1:96
	v_lshlrev_b32_e32 v28, 2, v28
	v_lshlrev_b32_e32 v30, 2, v27
	s_waitcnt vmcnt(0) lgkmcnt(0)
	s_barrier
	buffer_gl0_inv
	v_add3_u32 v28, 0, v28, v3
	v_and_or_b32 v12, 0x3f0, v12, v27
	v_lshlrev_b32_e32 v12, 2, v12
	v_pk_mul_f16 v41, v25, v8 op_sel:[0,1]
	v_pk_mul_f16 v40, v25, v9 op_sel:[0,1]
	;; [unrolled: 1-line block ×5, first 2 shown]
	v_pk_fma_f16 v46, v25, v8, v41 op_sel:[0,0,1] op_sel_hi:[1,1,0] neg_lo:[0,0,1] neg_hi:[0,0,1]
	v_pk_fma_f16 v8, v25, v8, v41 op_sel:[0,0,1] op_sel_hi:[1,0,0]
	v_pk_fma_f16 v45, v25, v9, v40 op_sel:[0,0,1] op_sel_hi:[1,1,0] neg_lo:[0,0,1] neg_hi:[0,0,1]
	v_pk_fma_f16 v9, v25, v9, v40 op_sel:[0,0,1] op_sel_hi:[1,0,0]
	;; [unrolled: 2-line block ×5, first 2 shown]
	v_bfi_b32 v8, 0xffff, v46, v8
	v_bfi_b32 v9, 0xffff, v45, v9
	;; [unrolled: 1-line block ×5, first 2 shown]
	v_pk_add_f16 v8, v31, v8 neg_lo:[0,1] neg_hi:[0,1]
	v_pk_add_f16 v9, v10, v9 neg_lo:[0,1] neg_hi:[0,1]
	;; [unrolled: 1-line block ×5, first 2 shown]
	v_pk_fma_f16 v31, v31, 2.0, v8 op_sel_hi:[1,0,1] neg_lo:[0,0,1] neg_hi:[0,0,1]
	v_pk_fma_f16 v10, v10, 2.0, v9 op_sel_hi:[1,0,1] neg_lo:[0,0,1] neg_hi:[0,0,1]
	;; [unrolled: 1-line block ×5, first 2 shown]
	ds_write2_b32 v33, v31, v8 offset1:4
	ds_write2_b32 v34, v10, v9 offset1:4
	ds_write2_b32 v35, v11, v6 offset1:4
	ds_write2_b32 v36, v14, v7 offset1:4
	ds_write2_b32 v28, v15, v25 offset1:4
	s_waitcnt lgkmcnt(0)
	s_barrier
	buffer_gl0_inv
	global_load_dword v10, v30, s[8:9] offset:24
	v_and_or_b32 v11, 0xf0, v26, v27
	ds_read_b32 v26, v18
	ds_read_b32 v28, v1 offset:3168
	ds_read2_b32 v[6:7], v23 offset0:104 offset1:192
	ds_read2_b32 v[8:9], v24 offset0:56 offset1:144
	v_and_or_b32 v15, 0x3f0, v21, v27
	v_and_or_b32 v21, 0x3f0, v22, v27
	;; [unrolled: 1-line block ×3, first 2 shown]
	v_lshlrev_b32_e32 v11, 2, v11
	v_add3_u32 v35, 0, v12, v3
	v_lshlrev_b32_e32 v15, 2, v15
	v_lshlrev_b32_e32 v21, 2, v21
	;; [unrolled: 1-line block ×3, first 2 shown]
	v_add3_u32 v31, 0, v11, v3
	v_add3_u32 v34, 0, v15, v3
	;; [unrolled: 1-line block ×3, first 2 shown]
	ds_read2_b32 v[21:22], v1 offset0:88 offset1:176
	ds_read2_b32 v[24:25], v13 offset0:8 offset1:96
	v_add3_u32 v32, 0, v14, v3
	s_waitcnt vmcnt(0) lgkmcnt(0)
	s_barrier
	buffer_gl0_inv
	v_pk_mul_f16 v11, v10, v28 op_sel:[0,1]
	v_pk_mul_f16 v12, v10, v7 op_sel:[0,1]
	;; [unrolled: 1-line block ×5, first 2 shown]
	v_pk_fma_f16 v29, v10, v28, v11 op_sel:[0,0,1] op_sel_hi:[1,1,0] neg_lo:[0,0,1] neg_hi:[0,0,1]
	v_pk_fma_f16 v11, v10, v28, v11 op_sel:[0,0,1] op_sel_hi:[1,0,0]
	v_pk_fma_f16 v28, v10, v7, v12 op_sel:[0,0,1] op_sel_hi:[1,1,0] neg_lo:[0,0,1] neg_hi:[0,0,1]
	v_pk_fma_f16 v7, v10, v7, v12 op_sel:[0,0,1] op_sel_hi:[1,0,0]
	;; [unrolled: 2-line block ×5, first 2 shown]
	v_bfi_b32 v10, 0xffff, v29, v11
	v_bfi_b32 v7, 0xffff, v28, v7
	v_bfi_b32 v11, 0xffff, v12, v6
	v_bfi_b32 v9, 0xffff, v14, v9
	v_bfi_b32 v14, 0xffff, v15, v8
	v_pk_add_f16 v12, v25, v10 neg_lo:[0,1] neg_hi:[0,1]
	v_pk_add_f16 v6, v24, v7 neg_lo:[0,1] neg_hi:[0,1]
	;; [unrolled: 1-line block ×5, first 2 shown]
	v_pk_fma_f16 v7, v25, 2.0, v12 op_sel_hi:[1,0,1] neg_lo:[0,0,1] neg_hi:[0,0,1]
	v_pk_fma_f16 v9, v24, 2.0, v6 op_sel_hi:[1,0,1] neg_lo:[0,0,1] neg_hi:[0,0,1]
	;; [unrolled: 1-line block ×5, first 2 shown]
	v_lshrrev_b32_e32 v29, 16, v12
	v_lshrrev_b32_e32 v30, 16, v6
	;; [unrolled: 1-line block ×4, first 2 shown]
	ds_write2_b32 v31, v21, v14 offset1:8
	ds_write2_b32 v32, v15, v10 offset1:8
	;; [unrolled: 1-line block ×4, first 2 shown]
	v_lshrrev_b32_e32 v26, 16, v7
	v_lshrrev_b32_e32 v31, 16, v9
	;; [unrolled: 1-line block ×6, first 2 shown]
	ds_write2_b32 v36, v7, v12 offset1:8
	s_waitcnt lgkmcnt(0)
	s_barrier
	buffer_gl0_inv
                                        ; implicit-def: $vgpr36
	s_and_saveexec_b32 s1, s0
	s_cbranch_execz .LBB0_19
; %bb.18:
	v_add_nc_u32_e32 v10, 0xa00, v1
	v_add_nc_u32_e32 v11, 0x200, v1
	ds_read_b32 v21, v18
	ds_read2_b32 v[6:7], v23 offset0:48 offset1:128
	ds_read2_b32 v[14:15], v1 offset0:80 offset1:160
	;; [unrolled: 1-line block ×5, first 2 shown]
	s_waitcnt lgkmcnt(5)
	v_lshrrev_b32_e32 v22, 16, v21
	s_waitcnt lgkmcnt(4)
	v_lshrrev_b32_e32 v26, 16, v7
	;; [unrolled: 2-line block ×3, first 2 shown]
	v_lshrrev_b32_e32 v32, 16, v15
	s_waitcnt lgkmcnt(2)
	v_lshrrev_b32_e32 v27, 16, v8
	v_lshrrev_b32_e32 v31, 16, v9
	s_waitcnt lgkmcnt(1)
	v_lshrrev_b32_e32 v29, 16, v12
	;; [unrolled: 3-line block ×3, first 2 shown]
	v_lshrrev_b32_e32 v35, 16, v11
	v_lshrrev_b32_e32 v30, 16, v6
.LBB0_19:
	s_or_b32 exec_lo, exec_lo, s1
	s_barrier
	buffer_gl0_inv
	s_and_saveexec_b32 s1, s0
	s_cbranch_execz .LBB0_21
; %bb.20:
	v_and_b32_e32 v23, 15, v0
	v_mul_u32_u24_e32 v24, 10, v23
	v_lshlrev_b32_e32 v24, 2, v24
	s_clause 0x2
	global_load_dwordx2 v[45:46], v24, s[8:9] offset:88
	global_load_dwordx4 v[37:40], v24, s[8:9] offset:56
	global_load_dwordx4 v[41:44], v24, s[8:9] offset:72
	v_lshrrev_b32_e32 v24, 4, v0
	v_mul_u32_u24_e32 v24, 0xb0, v24
	v_or_b32_e32 v23, v24, v23
	v_lshlrev_b32_e32 v23, 2, v23
	v_add3_u32 v3, 0, v23, v3
	s_waitcnt vmcnt(2)
	v_mul_f16_sdwa v49, v36, v46 dst_sel:DWORD dst_unused:UNUSED_PAD src0_sel:DWORD src1_sel:WORD_1
	s_waitcnt vmcnt(1)
	v_mul_f16_sdwa v47, v14, v37 dst_sel:DWORD dst_unused:UNUSED_PAD src0_sel:DWORD src1_sel:WORD_1
	v_mul_f16_sdwa v48, v34, v37 dst_sel:DWORD dst_unused:UNUSED_PAD src0_sel:DWORD src1_sel:WORD_1
	;; [unrolled: 1-line block ×7, first 2 shown]
	s_waitcnt vmcnt(0)
	v_mul_f16_sdwa v60, v8, v41 dst_sel:DWORD dst_unused:UNUSED_PAD src0_sel:DWORD src1_sel:WORD_1
	v_fmac_f16_e32 v47, v34, v37
	v_fma_f16 v14, v14, v37, -v48
	v_fma_f16 v13, v13, v46, -v49
	v_mul_f16_sdwa v24, v12, v45 dst_sel:DWORD dst_unused:UNUSED_PAD src0_sel:DWORD src1_sel:WORD_1
	v_mul_f16_sdwa v52, v29, v45 dst_sel:DWORD dst_unused:UNUSED_PAD src0_sel:DWORD src1_sel:WORD_1
	;; [unrolled: 1-line block ×11, first 2 shown]
	v_fmac_f16_e32 v50, v32, v38
	v_fma_f16 v15, v15, v38, -v51
	v_fmac_f16_e32 v53, v33, v39
	v_fma_f16 v10, v10, v39, -v54
	v_fmac_f16_e32 v60, v27, v41
	v_sub_f16_e32 v27, v14, v13
	v_add_f16_e32 v38, v14, v13
	v_add_f16_e32 v39, v22, v47
	;; [unrolled: 1-line block ×3, first 2 shown]
	v_fmac_f16_e32 v23, v36, v46
	v_fmac_f16_e32 v24, v29, v45
	v_fma_f16 v12, v12, v45, -v52
	v_fmac_f16_e32 v25, v26, v44
	v_fma_f16 v7, v7, v44, -v55
	v_fmac_f16_e32 v28, v30, v43
	v_fmac_f16_e32 v56, v35, v40
	v_fma_f16 v11, v11, v40, -v57
	v_fma_f16 v6, v6, v43, -v58
	v_fmac_f16_e32 v59, v31, v42
	v_fma_f16 v8, v8, v41, -v61
	v_fma_f16 v9, v9, v42, -v62
	v_add_f16_e32 v39, v39, v50
	v_add_f16_e32 v14, v14, v15
	;; [unrolled: 1-line block ×4, first 2 shown]
	v_sub_f16_e32 v30, v15, v12
	v_add_f16_e32 v31, v53, v25
	v_sub_f16_e32 v32, v10, v7
	v_add_f16_e32 v33, v56, v28
	;; [unrolled: 2-line block ×3, first 2 shown]
	v_sub_f16_e32 v36, v8, v9
	v_sub_f16_e32 v37, v47, v23
	v_add_f16_e32 v43, v10, v7
	v_add_f16_e32 v39, v39, v53
	;; [unrolled: 1-line block ×3, first 2 shown]
	v_sub_f16_e32 v40, v50, v24
	v_sub_f16_e32 v42, v53, v25
	;; [unrolled: 1-line block ×4, first 2 shown]
	v_mul_f16_e32 v48, 0x36a6, v26
	v_mul_f16_e32 v49, 0xb93d, v29
	v_mul_f16_e32 v51, 0xbbad, v31
	v_mul_f16_e32 v52, 0xb08e, v26
	v_mul_f16_e32 v54, 0xbbad, v29
	v_mul_f16_e32 v55, 0x36a6, v31
	v_mul_f16_e32 v57, 0xb93d, v26
	v_mul_f16_e32 v58, 0xb08e, v29
	v_mul_f16_e32 v61, 0x3abb, v31
	v_mul_f16_e32 v62, 0xbbad, v33
	v_mul_f16_e32 v63, 0xbbad, v26
	v_mul_f16_e32 v64, 0x3abb, v29
	v_mul_f16_e32 v65, 0xb93d, v31
	v_mul_f16_e32 v66, 0x36a6, v33
	v_mul_f16_e32 v67, 0xb853, v27
	v_mul_f16_e32 v68, 0xbb47, v30
	v_mul_f16_e32 v69, 0xbbeb, v32
	v_mul_f16_e32 v70, 0x3abb, v33
	v_mul_f16_e32 v71, 0xb08e, v33
	v_mul_f16_e32 v72, 0xba0c, v34
	v_mul_f16_e32 v73, 0xb08e, v35
	v_mul_f16_e32 v74, 0x36a6, v35
	v_mul_f16_e32 v75, 0xb93d, v35
	v_mul_f16_e32 v76, 0x3abb, v35
	v_mul_f16_e32 v77, 0xb482, v36
	v_mul_f16_e32 v78, 0xbb47, v37
	v_mul_f16_e32 v79, 0xbbeb, v37
	v_mul_f16_e32 v80, 0xba0c, v37
	v_mul_f16_e32 v81, 0xb482, v37
	v_add_f16_e32 v45, v11, v6
	v_mul_f16_e32 v37, 0xb853, v37
	v_add_f16_e32 v10, v10, v11
	v_add_f16_e32 v11, v39, v56
	;; [unrolled: 1-line block ×4, first 2 shown]
	v_mul_f16_e32 v15, 0x3853, v40
	v_mul_f16_e32 v50, 0xba0c, v40
	;; [unrolled: 1-line block ×20, first 2 shown]
	v_fmamk_f16 v96, v27, 0x3b47, v48
	v_fmamk_f16 v97, v30, 0x3a0c, v49
	;; [unrolled: 1-line block ×10, first 2 shown]
	v_fmac_f16_e32 v63, 0xb482, v27
	v_fmac_f16_e32 v57, 0xba0c, v27
	v_fmac_f16_e32 v52, 0xbbeb, v27
	v_fmac_f16_e32 v48, 0xbb47, v27
	v_fmamk_f16 v27, v30, 0xb853, v64
	v_fmac_f16_e32 v64, 0x3853, v30
	v_fmac_f16_e32 v58, 0x3beb, v30
	v_fmac_f16_e32 v54, 0x3482, v30
	v_fmac_f16_e32 v49, 0xba0c, v30
	v_fmamk_f16 v30, v32, 0x3a0c, v65
	;; [unrolled: 5-line block ×3, first 2 shown]
	v_fma_f16 v26, v26, 0x3abb, -v67
	v_fmamk_f16 v67, v29, 0x36a6, v68
	v_fma_f16 v29, v29, 0x36a6, -v68
	v_fmamk_f16 v68, v31, 0xb08e, v69
	;; [unrolled: 2-line block ×3, first 2 shown]
	v_fmac_f16_e32 v66, 0x3b47, v34
	v_fmamk_f16 v106, v34, 0x3482, v62
	v_fmac_f16_e32 v62, 0xb482, v34
	v_fmamk_f16 v107, v34, 0x3853, v70
	;; [unrolled: 2-line block ×4, first 2 shown]
	v_fma_f16 v33, v33, 0xb93d, -v72
	v_fmamk_f16 v72, v36, 0x3beb, v73
	v_fmac_f16_e32 v73, 0xbbeb, v36
	v_fmamk_f16 v109, v36, 0xbb47, v74
	v_fmac_f16_e32 v74, 0x3b47, v36
	;; [unrolled: 2-line block ×4, first 2 shown]
	v_fmamk_f16 v36, v35, 0xbbad, v77
	v_fma_f16 v35, v35, 0xbbad, -v77
	v_fmamk_f16 v77, v38, 0xbbad, v81
	v_fma_f16 v81, v38, 0xbbad, -v81
	;; [unrolled: 2-line block ×5, first 2 shown]
	v_fma_f16 v115, v38, 0x3abb, -v37
	v_add_f16_e32 v8, v10, v8
	v_add_f16_e32 v10, v11, v60
	v_fmac_f16_e32 v37, 0x3abb, v38
	v_fmamk_f16 v38, v41, 0x3abb, v15
	v_fma_f16 v15, v41, 0x3abb, -v15
	v_fmamk_f16 v116, v41, 0xb08e, v82
	v_fma_f16 v82, v41, 0xb08e, -v82
	v_fmamk_f16 v117, v41, 0xbbad, v83
	v_fma_f16 v83, v41, 0xbbad, -v83
	v_fmamk_f16 v118, v41, 0xb93d, v50
	v_fma_f16 v50, v41, 0xb93d, -v50
	v_fma_f16 v119, v41, 0x36a6, -v40
	v_fmac_f16_e32 v40, 0x36a6, v41
	v_fmamk_f16 v14, v43, 0xb93d, v84
	v_fma_f16 v41, v43, 0xb93d, -v84
	v_fmamk_f16 v53, v43, 0x3abb, v86
	v_fma_f16 v84, v43, 0x3abb, -v86
	v_fmamk_f16 v86, v43, 0x36a6, v87
	v_fma_f16 v87, v43, 0x36a6, -v87
	v_fmamk_f16 v120, v43, 0xbbad, v85
	v_fma_f16 v85, v43, 0xbbad, -v85
	v_fma_f16 v121, v43, 0xb08e, -v42
	;; [unrolled: 10-line block ×4, first 2 shown]
	v_fmac_f16_e32 v46, 0xbbad, v47
	v_add_f16_e32 v39, v22, v96
	v_add_f16_e32 v47, v22, v99
	;; [unrolled: 1-line block ×110, first 2 shown]
	v_pack_b32_f16 v12, v40, v39
	v_pack_b32_f16 v24, v38, v37
	;; [unrolled: 1-line block ×11, first 2 shown]
	ds_write2_b32 v3, v12, v24 offset0:32 offset1:48
	ds_write2_b32 v3, v25, v15 offset0:64 offset1:80
	;; [unrolled: 1-line block ×4, first 2 shown]
	ds_write2_b32 v3, v6, v8 offset1:16
	ds_write_b32 v3, v9 offset:640
.LBB0_21:
	s_or_b32 exec_lo, exec_lo, s1
	v_mov_b32_e32 v3, 0
	v_sub_nc_u32_e32 v24, v20, v2
	s_waitcnt lgkmcnt(0)
	s_barrier
	buffer_gl0_inv
	v_lshlrev_b64 v[6:7], 2, v[2:3]
	v_lshlrev_b32_e32 v2, 2, v19
	v_add_nc_u32_e32 v26, 0x800, v1
	v_add_nc_u32_e32 v22, 0x400, v1
	v_lshl_add_u32 v17, v17, 2, v24
	v_add_nc_u32_e32 v27, 0x200, v1
	v_lshlrev_b64 v[10:11], 2, v[2:3]
	v_add_co_u32 v6, s0, s8, v6
	v_add_co_ci_u32_e64 v7, s0, s9, v7, s0
	v_add_co_u32 v10, s0, s8, v10
	global_load_dwordx4 v[6:9], v[6:7], off offset:696
	v_add_co_ci_u32_e64 v11, s0, s9, v11, s0
	global_load_dwordx4 v[10:13], v[10:11], off offset:696
	ds_read2_b32 v[14:15], v1 offset0:88 offset1:176
	ds_read_b32 v2, v18
	v_add_nc_u32_e32 v18, 0x600, v1
	ds_read_b32 v25, v1 offset:3168
	ds_read2_b32 v[18:19], v18 offset0:56 offset1:144
	ds_read2_b32 v[20:21], v26 offset0:104 offset1:192
	;; [unrolled: 1-line block ×3, first 2 shown]
	s_waitcnt vmcnt(0) lgkmcnt(0)
	s_barrier
	buffer_gl0_inv
	v_lshrrev_b32_e32 v30, 16, v15
	v_lshrrev_b32_e32 v24, 16, v2
	;; [unrolled: 1-line block ×10, first 2 shown]
	v_mul_f16_sdwa v37, v6, v30 dst_sel:DWORD dst_unused:UNUSED_PAD src0_sel:WORD_1 src1_sel:DWORD
	v_mul_f16_sdwa v38, v6, v15 dst_sel:DWORD dst_unused:UNUSED_PAD src0_sel:WORD_1 src1_sel:DWORD
	;; [unrolled: 1-line block ×8, first 2 shown]
	v_fma_f16 v15, v6, v15, -v37
	v_fmac_f16_e32 v38, v6, v30
	v_fma_f16 v6, v7, v23, -v39
	v_fmac_f16_e32 v40, v7, v33
	;; [unrolled: 2-line block ×4, first 2 shown]
	v_mul_f16_sdwa v9, v10, v36 dst_sel:DWORD dst_unused:UNUSED_PAD src0_sel:WORD_1 src1_sel:DWORD
	v_mul_f16_sdwa v19, v10, v22 dst_sel:DWORD dst_unused:UNUSED_PAD src0_sel:WORD_1 src1_sel:DWORD
	v_mul_f16_sdwa v21, v31, v11 dst_sel:DWORD dst_unused:UNUSED_PAD src0_sel:DWORD src1_sel:WORD_1
	v_mul_f16_sdwa v23, v18, v11 dst_sel:DWORD dst_unused:UNUSED_PAD src0_sel:DWORD src1_sel:WORD_1
	;; [unrolled: 1-line block ×6, first 2 shown]
	v_fma_f16 v9, v10, v22, -v9
	v_fmac_f16_e32 v19, v10, v36
	v_fma_f16 v10, v18, v11, -v21
	v_fmac_f16_e32 v23, v31, v11
	;; [unrolled: 2-line block ×4, first 2 shown]
	v_add_f16_e32 v13, v2, v15
	v_add_f16_e32 v18, v6, v7
	v_sub_f16_e32 v22, v15, v6
	v_sub_f16_e32 v25, v8, v7
	v_add_f16_e32 v29, v15, v8
	v_add_f16_e32 v32, v24, v38
	;; [unrolled: 1-line block ×4, first 2 shown]
	v_sub_f16_e32 v30, v6, v15
	v_sub_f16_e32 v31, v7, v8
	;; [unrolled: 1-line block ×8, first 2 shown]
	v_add_f16_e32 v6, v13, v6
	v_fma_f16 v13, -0.5, v18, v2
	v_add_f16_e32 v18, v22, v25
	v_fmac_f16_e32 v2, -0.5, v29
	v_add_f16_e32 v25, v32, v40
	v_fma_f16 v29, -0.5, v34, v24
	v_fmac_f16_e32 v24, -0.5, v41
	v_sub_f16_e32 v38, v40, v38
	v_sub_f16_e32 v43, v42, v44
	v_add_f16_e32 v32, v14, v9
	v_add_f16_e32 v46, v28, v19
	;; [unrolled: 1-line block ×5, first 2 shown]
	v_sub_f16_e32 v39, v9, v10
	v_sub_f16_e32 v40, v12, v11
	v_add_f16_e32 v47, v23, v33
	v_add_f16_e32 v41, v9, v12
	;; [unrolled: 1-line block ×4, first 2 shown]
	v_fmamk_f16 v7, v20, 0x3b9c, v13
	v_fmamk_f16 v53, v21, 0xbb9c, v2
	v_add_f16_e32 v25, v25, v42
	v_fmamk_f16 v42, v15, 0xbb9c, v29
	v_fmamk_f16 v54, v36, 0x3b9c, v24
	v_fmac_f16_e32 v13, 0xbb9c, v20
	v_fmac_f16_e32 v2, 0x3b9c, v21
	;; [unrolled: 1-line block ×4, first 2 shown]
	v_add_f16_e32 v31, v38, v43
	v_sub_f16_e32 v37, v19, v35
	v_sub_f16_e32 v38, v23, v33
	;; [unrolled: 1-line block ×6, first 2 shown]
	v_add_f16_e32 v10, v32, v10
	v_add_f16_e32 v23, v46, v23
	v_fma_f16 v32, -0.5, v34, v14
	v_sub_f16_e32 v9, v9, v12
	v_add_f16_e32 v34, v39, v40
	v_fma_f16 v40, -0.5, v47, v28
	v_fmac_f16_e32 v14, -0.5, v41
	v_fmac_f16_e32 v28, -0.5, v51
	v_fmac_f16_e32 v7, 0x38b4, v21
	v_fmac_f16_e32 v53, 0x38b4, v20
	;; [unrolled: 1-line block ×8, first 2 shown]
	v_add_f16_e32 v10, v10, v11
	v_add_f16_e32 v20, v23, v33
	v_sub_f16_e32 v45, v11, v12
	v_fmamk_f16 v11, v37, 0x3b9c, v32
	v_sub_f16_e32 v50, v35, v33
	v_fmamk_f16 v21, v9, 0xbb9c, v40
	v_sub_f16_e32 v52, v33, v35
	v_add_f16_e32 v6, v6, v8
	v_add_f16_e32 v8, v25, v44
	v_fmac_f16_e32 v32, 0xbb9c, v37
	v_fmamk_f16 v15, v38, 0xbb9c, v14
	v_fmac_f16_e32 v14, 0x3b9c, v38
	v_fmac_f16_e32 v40, 0x3b9c, v9
	v_fmamk_f16 v23, v48, 0x3b9c, v28
	v_fmac_f16_e32 v28, 0xbb9c, v48
	v_fmac_f16_e32 v7, 0x34f2, v18
	;; [unrolled: 1-line block ×9, first 2 shown]
	v_add_f16_e32 v10, v10, v12
	v_add_f16_e32 v12, v20, v35
	v_fmac_f16_e32 v11, 0x38b4, v38
	v_add_f16_e32 v41, v49, v50
	v_fmac_f16_e32 v21, 0xb8b4, v48
	v_add_f16_e32 v39, v43, v45
	v_add_f16_e32 v19, v19, v52
	v_fmac_f16_e32 v32, 0xb8b4, v38
	v_fmac_f16_e32 v15, 0x38b4, v37
	;; [unrolled: 1-line block ×6, first 2 shown]
	v_pack_b32_f16 v6, v6, v8
	v_pack_b32_f16 v7, v7, v42
	;; [unrolled: 1-line block ×6, first 2 shown]
	v_fmac_f16_e32 v11, 0x34f2, v34
	v_fmac_f16_e32 v21, 0x34f2, v41
	;; [unrolled: 1-line block ×8, first 2 shown]
	ds_write2_b32 v27, v7, v8 offset0:48 offset1:224
	ds_write2_b32 v26, v2, v9 offset0:16 offset1:192
	ds_write2_b32 v1, v6, v10 offset1:88
	ds_write_b16 v17, v11 offset:1056
	ds_write_b16 v17, v21 offset:1058
	;; [unrolled: 1-line block ×8, first 2 shown]
	s_waitcnt lgkmcnt(0)
	s_barrier
	buffer_gl0_inv
	s_and_saveexec_b32 s0, vcc_lo
	s_cbranch_execz .LBB0_23
; %bb.22:
	v_lshl_add_u32 v16, v0, 2, v16
	v_mov_b32_e32 v1, v3
	v_add_nc_u32_e32 v2, 0x58, v0
	v_add_co_u32 v18, vcc_lo, s2, v4
	ds_read2_b32 v[6:7], v16 offset1:88
	v_lshlrev_b64 v[8:9], 2, v[0:1]
	v_lshlrev_b64 v[10:11], 2, v[2:3]
	v_add_co_ci_u32_e32 v19, vcc_lo, s3, v5, vcc_lo
	v_add_nc_u32_e32 v2, 0xb0, v0
	v_add_nc_u32_e32 v1, 0x200, v16
	v_add_co_u32 v8, vcc_lo, v18, v8
	v_add_co_ci_u32_e32 v9, vcc_lo, v19, v9, vcc_lo
	v_add_co_u32 v10, vcc_lo, v18, v10
	v_add_co_ci_u32_e32 v11, vcc_lo, v19, v11, vcc_lo
	v_add_nc_u32_e32 v14, 0x400, v16
	v_lshlrev_b64 v[4:5], 2, v[2:3]
	v_add_nc_u32_e32 v2, 0x108, v0
	ds_read2_b32 v[12:13], v1 offset0:48 offset1:136
	v_add_nc_u32_e32 v1, 0x800, v16
	s_waitcnt lgkmcnt(1)
	global_store_dword v[8:9], v6, off
	global_store_dword v[10:11], v7, off
	ds_read2_b32 v[8:9], v14 offset0:96 offset1:184
	v_lshlrev_b64 v[6:7], 2, v[2:3]
	v_add_nc_u32_e32 v2, 0x160, v0
	v_add_co_u32 v4, vcc_lo, v18, v4
	v_add_co_ci_u32_e32 v5, vcc_lo, v19, v5, vcc_lo
	v_lshlrev_b64 v[10:11], 2, v[2:3]
	v_add_nc_u32_e32 v2, 0x1b8, v0
	v_add_co_u32 v6, vcc_lo, v18, v6
	v_add_co_ci_u32_e32 v7, vcc_lo, v19, v7, vcc_lo
	v_add_co_u32 v10, vcc_lo, v18, v10
	v_lshlrev_b64 v[14:15], 2, v[2:3]
	v_add_nc_u32_e32 v2, 0x210, v0
	v_add_co_ci_u32_e32 v11, vcc_lo, v19, v11, vcc_lo
	s_waitcnt lgkmcnt(1)
	global_store_dword v[4:5], v12, off
	global_store_dword v[6:7], v13, off
	s_waitcnt lgkmcnt(0)
	global_store_dword v[10:11], v8, off
	v_lshlrev_b64 v[4:5], 2, v[2:3]
	v_add_nc_u32_e32 v2, 0x268, v0
	v_add_nc_u32_e32 v8, 0xa00, v16
	v_add_co_u32 v6, vcc_lo, v18, v14
	ds_read2_b32 v[10:11], v1 offset0:16 offset1:104
	v_lshlrev_b64 v[12:13], 2, v[2:3]
	v_add_nc_u32_e32 v2, 0x2c0, v0
	v_add_co_ci_u32_e32 v7, vcc_lo, v19, v15, vcc_lo
	ds_read2_b32 v[14:15], v8 offset0:64 offset1:152
	v_add_co_u32 v4, vcc_lo, v18, v4
	v_lshlrev_b64 v[16:17], 2, v[2:3]
	v_add_nc_u32_e32 v2, 0x318, v0
	v_add_co_ci_u32_e32 v5, vcc_lo, v19, v5, vcc_lo
	v_add_co_u32 v0, vcc_lo, v18, v12
	v_lshlrev_b64 v[2:3], 2, v[2:3]
	v_add_co_ci_u32_e32 v1, vcc_lo, v19, v13, vcc_lo
	v_add_co_u32 v12, vcc_lo, v18, v16
	v_add_co_ci_u32_e32 v13, vcc_lo, v19, v17, vcc_lo
	v_add_co_u32 v2, vcc_lo, v18, v2
	v_add_co_ci_u32_e32 v3, vcc_lo, v19, v3, vcc_lo
	global_store_dword v[6:7], v9, off
	s_waitcnt lgkmcnt(1)
	global_store_dword v[4:5], v10, off
	global_store_dword v[0:1], v11, off
	s_waitcnt lgkmcnt(0)
	global_store_dword v[12:13], v14, off
	global_store_dword v[2:3], v15, off
.LBB0_23:
	s_endpgm
	.section	.rodata,"a",@progbits
	.p2align	6, 0x0
	.amdhsa_kernel fft_rtc_fwd_len880_factors_2_2_2_2_11_5_wgs_176_tpt_88_halfLds_half_ip_CI_unitstride_sbrr_C2R_dirReg
		.amdhsa_group_segment_fixed_size 0
		.amdhsa_private_segment_fixed_size 0
		.amdhsa_kernarg_size 88
		.amdhsa_user_sgpr_count 6
		.amdhsa_user_sgpr_private_segment_buffer 1
		.amdhsa_user_sgpr_dispatch_ptr 0
		.amdhsa_user_sgpr_queue_ptr 0
		.amdhsa_user_sgpr_kernarg_segment_ptr 1
		.amdhsa_user_sgpr_dispatch_id 0
		.amdhsa_user_sgpr_flat_scratch_init 0
		.amdhsa_user_sgpr_private_segment_size 0
		.amdhsa_wavefront_size32 1
		.amdhsa_uses_dynamic_stack 0
		.amdhsa_system_sgpr_private_segment_wavefront_offset 0
		.amdhsa_system_sgpr_workgroup_id_x 1
		.amdhsa_system_sgpr_workgroup_id_y 0
		.amdhsa_system_sgpr_workgroup_id_z 0
		.amdhsa_system_sgpr_workgroup_info 0
		.amdhsa_system_vgpr_workitem_id 0
		.amdhsa_next_free_vgpr 130
		.amdhsa_next_free_sgpr 21
		.amdhsa_reserve_vcc 1
		.amdhsa_reserve_flat_scratch 0
		.amdhsa_float_round_mode_32 0
		.amdhsa_float_round_mode_16_64 0
		.amdhsa_float_denorm_mode_32 3
		.amdhsa_float_denorm_mode_16_64 3
		.amdhsa_dx10_clamp 1
		.amdhsa_ieee_mode 1
		.amdhsa_fp16_overflow 0
		.amdhsa_workgroup_processor_mode 1
		.amdhsa_memory_ordered 1
		.amdhsa_forward_progress 0
		.amdhsa_shared_vgpr_count 0
		.amdhsa_exception_fp_ieee_invalid_op 0
		.amdhsa_exception_fp_denorm_src 0
		.amdhsa_exception_fp_ieee_div_zero 0
		.amdhsa_exception_fp_ieee_overflow 0
		.amdhsa_exception_fp_ieee_underflow 0
		.amdhsa_exception_fp_ieee_inexact 0
		.amdhsa_exception_int_div_zero 0
	.end_amdhsa_kernel
	.text
.Lfunc_end0:
	.size	fft_rtc_fwd_len880_factors_2_2_2_2_11_5_wgs_176_tpt_88_halfLds_half_ip_CI_unitstride_sbrr_C2R_dirReg, .Lfunc_end0-fft_rtc_fwd_len880_factors_2_2_2_2_11_5_wgs_176_tpt_88_halfLds_half_ip_CI_unitstride_sbrr_C2R_dirReg
                                        ; -- End function
	.section	.AMDGPU.csdata,"",@progbits
; Kernel info:
; codeLenInByte = 8684
; NumSgprs: 23
; NumVgprs: 130
; ScratchSize: 0
; MemoryBound: 0
; FloatMode: 240
; IeeeMode: 1
; LDSByteSize: 0 bytes/workgroup (compile time only)
; SGPRBlocks: 2
; VGPRBlocks: 16
; NumSGPRsForWavesPerEU: 23
; NumVGPRsForWavesPerEU: 130
; Occupancy: 7
; WaveLimiterHint : 1
; COMPUTE_PGM_RSRC2:SCRATCH_EN: 0
; COMPUTE_PGM_RSRC2:USER_SGPR: 6
; COMPUTE_PGM_RSRC2:TRAP_HANDLER: 0
; COMPUTE_PGM_RSRC2:TGID_X_EN: 1
; COMPUTE_PGM_RSRC2:TGID_Y_EN: 0
; COMPUTE_PGM_RSRC2:TGID_Z_EN: 0
; COMPUTE_PGM_RSRC2:TIDIG_COMP_CNT: 0
	.text
	.p2alignl 6, 3214868480
	.fill 48, 4, 3214868480
	.type	__hip_cuid_31280ae4c0a268e1,@object ; @__hip_cuid_31280ae4c0a268e1
	.section	.bss,"aw",@nobits
	.globl	__hip_cuid_31280ae4c0a268e1
__hip_cuid_31280ae4c0a268e1:
	.byte	0                               ; 0x0
	.size	__hip_cuid_31280ae4c0a268e1, 1

	.ident	"AMD clang version 19.0.0git (https://github.com/RadeonOpenCompute/llvm-project roc-6.4.0 25133 c7fe45cf4b819c5991fe208aaa96edf142730f1d)"
	.section	".note.GNU-stack","",@progbits
	.addrsig
	.addrsig_sym __hip_cuid_31280ae4c0a268e1
	.amdgpu_metadata
---
amdhsa.kernels:
  - .args:
      - .actual_access:  read_only
        .address_space:  global
        .offset:         0
        .size:           8
        .value_kind:     global_buffer
      - .offset:         8
        .size:           8
        .value_kind:     by_value
      - .actual_access:  read_only
        .address_space:  global
        .offset:         16
        .size:           8
        .value_kind:     global_buffer
      - .actual_access:  read_only
        .address_space:  global
        .offset:         24
        .size:           8
        .value_kind:     global_buffer
      - .offset:         32
        .size:           8
        .value_kind:     by_value
      - .actual_access:  read_only
        .address_space:  global
        .offset:         40
        .size:           8
        .value_kind:     global_buffer
      - .actual_access:  read_only
        .address_space:  global
        .offset:         48
        .size:           8
        .value_kind:     global_buffer
      - .offset:         56
        .size:           4
        .value_kind:     by_value
      - .actual_access:  read_only
        .address_space:  global
        .offset:         64
        .size:           8
        .value_kind:     global_buffer
      - .actual_access:  read_only
        .address_space:  global
        .offset:         72
        .size:           8
        .value_kind:     global_buffer
      - .address_space:  global
        .offset:         80
        .size:           8
        .value_kind:     global_buffer
    .group_segment_fixed_size: 0
    .kernarg_segment_align: 8
    .kernarg_segment_size: 88
    .language:       OpenCL C
    .language_version:
      - 2
      - 0
    .max_flat_workgroup_size: 176
    .name:           fft_rtc_fwd_len880_factors_2_2_2_2_11_5_wgs_176_tpt_88_halfLds_half_ip_CI_unitstride_sbrr_C2R_dirReg
    .private_segment_fixed_size: 0
    .sgpr_count:     23
    .sgpr_spill_count: 0
    .symbol:         fft_rtc_fwd_len880_factors_2_2_2_2_11_5_wgs_176_tpt_88_halfLds_half_ip_CI_unitstride_sbrr_C2R_dirReg.kd
    .uniform_work_group_size: 1
    .uses_dynamic_stack: false
    .vgpr_count:     130
    .vgpr_spill_count: 0
    .wavefront_size: 32
    .workgroup_processor_mode: 1
amdhsa.target:   amdgcn-amd-amdhsa--gfx1030
amdhsa.version:
  - 1
  - 2
...

	.end_amdgpu_metadata
